;; amdgpu-corpus repo=ROCm/rocFFT kind=compiled arch=gfx1100 opt=O3
	.text
	.amdgcn_target "amdgcn-amd-amdhsa--gfx1100"
	.amdhsa_code_object_version 6
	.protected	fft_rtc_fwd_len96_factors_4_2_3_4_wgs_128_tpt_8_halfLds_dim2_dp_op_CI_CI_sbcc_twdbase8_2step_dirReg_intrinsicReadWrite ; -- Begin function fft_rtc_fwd_len96_factors_4_2_3_4_wgs_128_tpt_8_halfLds_dim2_dp_op_CI_CI_sbcc_twdbase8_2step_dirReg_intrinsicReadWrite
	.globl	fft_rtc_fwd_len96_factors_4_2_3_4_wgs_128_tpt_8_halfLds_dim2_dp_op_CI_CI_sbcc_twdbase8_2step_dirReg_intrinsicReadWrite
	.p2align	8
	.type	fft_rtc_fwd_len96_factors_4_2_3_4_wgs_128_tpt_8_halfLds_dim2_dp_op_CI_CI_sbcc_twdbase8_2step_dirReg_intrinsicReadWrite,@function
fft_rtc_fwd_len96_factors_4_2_3_4_wgs_128_tpt_8_halfLds_dim2_dp_op_CI_CI_sbcc_twdbase8_2step_dirReg_intrinsicReadWrite: ; @fft_rtc_fwd_len96_factors_4_2_3_4_wgs_128_tpt_8_halfLds_dim2_dp_op_CI_CI_sbcc_twdbase8_2step_dirReg_intrinsicReadWrite
; %bb.0:
	s_load_b128 s[4:7], s[0:1], 0x10
	s_mov_b32 s8, s15
	s_mov_b32 s9, 0
	s_waitcnt lgkmcnt(0)
	s_load_b64 s[12:13], s[4:5], 0x8
	s_load_b64 s[4:5], s[0:1], 0x58
	;; [unrolled: 1-line block ×3, first 2 shown]
	s_waitcnt lgkmcnt(0)
	s_add_u32 s2, s12, -1
	s_addc_u32 s3, s13, -1
	s_delay_alu instid0(SALU_CYCLE_1) | instskip(NEXT) | instid1(SALU_CYCLE_1)
	s_lshr_b64 s[2:3], s[2:3], 4
	s_add_u32 s14, s2, 1
	s_addc_u32 s15, s3, 0
	s_delay_alu instid0(SALU_CYCLE_1) | instskip(NEXT) | instid1(VALU_DEP_1)
	v_cmp_lt_u64_e64 s2, s[8:9], s[14:15]
	s_and_b32 vcc_lo, exec_lo, s2
	s_mov_b64 s[2:3], 0
	s_cbranch_vccnz .LBB0_2
; %bb.1:
	v_cvt_f32_u32_e32 v1, s14
	s_sub_i32 s3, 0, s14
	s_delay_alu instid0(VALU_DEP_1) | instskip(SKIP_2) | instid1(VALU_DEP_1)
	v_rcp_iflag_f32_e32 v1, v1
	s_waitcnt_depctr 0xfff
	v_mul_f32_e32 v1, 0x4f7ffffe, v1
	v_cvt_u32_f32_e32 v1, v1
	s_delay_alu instid0(VALU_DEP_1) | instskip(NEXT) | instid1(VALU_DEP_1)
	v_readfirstlane_b32 s2, v1
	s_mul_i32 s3, s3, s2
	s_delay_alu instid0(SALU_CYCLE_1) | instskip(NEXT) | instid1(SALU_CYCLE_1)
	s_mul_hi_u32 s3, s2, s3
	s_add_i32 s2, s2, s3
	s_delay_alu instid0(SALU_CYCLE_1) | instskip(NEXT) | instid1(SALU_CYCLE_1)
	s_mul_hi_u32 s2, s8, s2
	s_mul_i32 s3, s2, s14
	s_add_i32 s9, s2, 1
	s_sub_i32 s3, s8, s3
	s_delay_alu instid0(SALU_CYCLE_1)
	s_sub_i32 s11, s3, s14
	s_cmp_ge_u32 s3, s14
	s_cselect_b32 s2, s9, s2
	s_cselect_b32 s3, s11, s3
	s_add_i32 s9, s2, 1
	s_cmp_ge_u32 s3, s14
	s_cselect_b32 s2, s9, s2
.LBB0_2:
	s_load_b128 s[16:19], s[6:7], 0x8
	v_dual_mov_b32 v2, 0 :: v_dual_and_b32 v53, 15, v0
	s_mul_i32 s3, s2, s15
	s_mul_hi_u32 s6, s2, s14
	s_mul_i32 s7, s2, s14
	s_add_i32 s3, s6, s3
	s_sub_u32 s6, s8, s7
	s_subb_u32 s7, 0, s3
	v_lshrrev_b32_e32 v57, 4, v0
	s_lshl_b64 s[8:9], s[6:7], 4
	s_delay_alu instid0(SALU_CYCLE_1) | instskip(SKIP_3) | instid1(SALU_CYCLE_1)
	v_dual_mov_b32 v3, 0 :: v_dual_mov_b32 v50, s9
	v_or_b32_e32 v49, s8, v53
	s_add_u32 s6, s8, 16
	s_addc_u32 s7, s9, 0
	v_cmp_le_u64_e64 s3, s[6:7], s[12:13]
	s_delay_alu instid0(VALU_DEP_2)
	v_cmp_gt_u64_e32 vcc_lo, s[12:13], v[49:50]
	s_waitcnt lgkmcnt(0)
	v_mad_u64_u32 v[51:52], null, s16, v53, 0
	v_mov_b32_e32 v4, 0
	s_mul_i32 s6, s8, s16
	s_mul_i32 s7, s18, s2
	s_or_b32 s3, s3, vcc_lo
	v_add_co_u32 v54, null, s7, s6
	s_delay_alu instid0(VALU_DEP_3) | instskip(SKIP_1) | instid1(VALU_DEP_2)
	v_mov_b32_e32 v1, v52
	v_dual_mov_b32 v8, v4 :: v_dual_mov_b32 v7, v3
	v_mad_u64_u32 v[5:6], null, s17, v53, v[1:2]
	v_dual_mov_b32 v6, v4 :: v_dual_mov_b32 v5, v3
	s_and_saveexec_b32 s6, s3
	s_cbranch_execz .LBB0_4
; %bb.3:
	v_mul_lo_u32 v1, s10, v57
	s_delay_alu instid0(VALU_DEP_1) | instskip(NEXT) | instid1(VALU_DEP_1)
	v_add3_u32 v1, v54, v51, v1
	v_lshlrev_b64 v[1:2], 4, v[1:2]
	s_delay_alu instid0(VALU_DEP_1) | instskip(NEXT) | instid1(VALU_DEP_2)
	v_add_co_u32 v1, vcc_lo, s4, v1
	v_add_co_ci_u32_e32 v2, vcc_lo, s5, v2, vcc_lo
	global_load_b128 v[5:8], v[1:2], off
.LBB0_4:
	s_or_b32 exec_lo, exec_lo, s6
	v_dual_mov_b32 v1, v3 :: v_dual_add_nc_u32 v58, 24, v57
	v_mov_b32_e32 v2, v4
	s_and_saveexec_b32 s6, s3
	s_cbranch_execz .LBB0_6
; %bb.5:
	s_delay_alu instid0(VALU_DEP_2) | instskip(SKIP_1) | instid1(VALU_DEP_2)
	v_mul_lo_u32 v1, s10, v58
	v_mov_b32_e32 v2, 0
	v_add3_u32 v1, v54, v51, v1
	s_delay_alu instid0(VALU_DEP_1) | instskip(NEXT) | instid1(VALU_DEP_1)
	v_lshlrev_b64 v[1:2], 4, v[1:2]
	v_add_co_u32 v1, vcc_lo, s4, v1
	s_delay_alu instid0(VALU_DEP_2)
	v_add_co_ci_u32_e32 v2, vcc_lo, s5, v2, vcc_lo
	global_load_b128 v[1:4], v[1:2], off
.LBB0_6:
	s_or_b32 exec_lo, exec_lo, s6
	v_mov_b32_e32 v11, 0
	v_mov_b32_e32 v12, 0
	s_delay_alu instid0(VALU_DEP_1)
	v_dual_mov_b32 v16, v12 :: v_dual_mov_b32 v15, v11
	v_dual_mov_b32 v14, v12 :: v_dual_mov_b32 v13, v11
	s_and_saveexec_b32 s6, s3
	s_cbranch_execz .LBB0_8
; %bb.7:
	v_dual_mov_b32 v10, 0 :: v_dual_add_nc_u32 v9, 48, v57
	s_delay_alu instid0(VALU_DEP_1) | instskip(NEXT) | instid1(VALU_DEP_1)
	v_mul_lo_u32 v9, s10, v9
	v_add3_u32 v9, v54, v51, v9
	s_delay_alu instid0(VALU_DEP_1) | instskip(NEXT) | instid1(VALU_DEP_1)
	v_lshlrev_b64 v[9:10], 4, v[9:10]
	v_add_co_u32 v9, vcc_lo, s4, v9
	s_delay_alu instid0(VALU_DEP_2)
	v_add_co_ci_u32_e32 v10, vcc_lo, s5, v10, vcc_lo
	global_load_b128 v[13:16], v[9:10], off
.LBB0_8:
	s_or_b32 exec_lo, exec_lo, s6
	v_dual_mov_b32 v9, v11 :: v_dual_mov_b32 v10, v12
	s_and_saveexec_b32 s6, s3
	s_cbranch_execz .LBB0_10
; %bb.9:
	v_dual_mov_b32 v10, 0 :: v_dual_add_nc_u32 v9, 0x48, v57
	s_delay_alu instid0(VALU_DEP_1) | instskip(NEXT) | instid1(VALU_DEP_1)
	v_mul_lo_u32 v9, s10, v9
	v_add3_u32 v9, v54, v51, v9
	s_delay_alu instid0(VALU_DEP_1) | instskip(NEXT) | instid1(VALU_DEP_1)
	v_lshlrev_b64 v[9:10], 4, v[9:10]
	v_add_co_u32 v9, vcc_lo, s4, v9
	s_delay_alu instid0(VALU_DEP_2)
	v_add_co_ci_u32_e32 v10, vcc_lo, s5, v10, vcc_lo
	global_load_b128 v[9:12], v[9:10], off
.LBB0_10:
	s_or_b32 exec_lo, exec_lo, s6
	v_dual_mov_b32 v19, 0 :: v_dual_add_nc_u32 v50, 8, v57
	v_mov_b32_e32 v20, 0
	s_delay_alu instid0(VALU_DEP_1)
	v_dual_mov_b32 v24, v20 :: v_dual_mov_b32 v23, v19
	v_dual_mov_b32 v22, v20 :: v_dual_mov_b32 v21, v19
	s_and_saveexec_b32 s6, s3
	s_cbranch_execz .LBB0_12
; %bb.11:
	v_mul_lo_u32 v17, s10, v50
	v_mov_b32_e32 v18, 0
	s_delay_alu instid0(VALU_DEP_2) | instskip(NEXT) | instid1(VALU_DEP_1)
	v_add3_u32 v17, v54, v51, v17
	v_lshlrev_b64 v[17:18], 4, v[17:18]
	s_delay_alu instid0(VALU_DEP_1) | instskip(NEXT) | instid1(VALU_DEP_2)
	v_add_co_u32 v17, vcc_lo, s4, v17
	v_add_co_ci_u32_e32 v18, vcc_lo, s5, v18, vcc_lo
	global_load_b128 v[21:24], v[17:18], off
.LBB0_12:
	s_or_b32 exec_lo, exec_lo, s6
	v_mov_b32_e32 v17, v19
	v_dual_mov_b32 v18, v20 :: v_dual_add_nc_u32 v59, 32, v57
	s_and_saveexec_b32 s6, s3
	s_cbranch_execz .LBB0_14
; %bb.13:
	s_delay_alu instid0(VALU_DEP_1) | instskip(SKIP_1) | instid1(VALU_DEP_2)
	v_mul_lo_u32 v17, s10, v59
	v_mov_b32_e32 v18, 0
	v_add3_u32 v17, v54, v51, v17
	s_delay_alu instid0(VALU_DEP_1) | instskip(NEXT) | instid1(VALU_DEP_1)
	v_lshlrev_b64 v[17:18], 4, v[17:18]
	v_add_co_u32 v17, vcc_lo, s4, v17
	s_delay_alu instid0(VALU_DEP_2)
	v_add_co_ci_u32_e32 v18, vcc_lo, s5, v18, vcc_lo
	global_load_b128 v[17:20], v[17:18], off
.LBB0_14:
	s_or_b32 exec_lo, exec_lo, s6
	v_mov_b32_e32 v27, 0
	v_mov_b32_e32 v28, 0
	s_delay_alu instid0(VALU_DEP_1)
	v_dual_mov_b32 v32, v28 :: v_dual_mov_b32 v31, v27
	v_dual_mov_b32 v30, v28 :: v_dual_mov_b32 v29, v27
	s_and_saveexec_b32 s6, s3
	s_cbranch_execz .LBB0_16
; %bb.15:
	v_dual_mov_b32 v26, 0 :: v_dual_add_nc_u32 v25, 56, v57
	s_delay_alu instid0(VALU_DEP_1) | instskip(NEXT) | instid1(VALU_DEP_1)
	v_mul_lo_u32 v25, s10, v25
	v_add3_u32 v25, v54, v51, v25
	s_delay_alu instid0(VALU_DEP_1) | instskip(NEXT) | instid1(VALU_DEP_1)
	v_lshlrev_b64 v[25:26], 4, v[25:26]
	v_add_co_u32 v25, vcc_lo, s4, v25
	s_delay_alu instid0(VALU_DEP_2)
	v_add_co_ci_u32_e32 v26, vcc_lo, s5, v26, vcc_lo
	global_load_b128 v[29:32], v[25:26], off
.LBB0_16:
	s_or_b32 exec_lo, exec_lo, s6
	v_dual_mov_b32 v25, v27 :: v_dual_mov_b32 v26, v28
	s_and_saveexec_b32 s6, s3
	s_cbranch_execz .LBB0_18
; %bb.17:
	v_dual_mov_b32 v26, 0 :: v_dual_add_nc_u32 v25, 0x50, v57
	s_delay_alu instid0(VALU_DEP_1) | instskip(NEXT) | instid1(VALU_DEP_1)
	v_mul_lo_u32 v25, s10, v25
	v_add3_u32 v25, v54, v51, v25
	s_delay_alu instid0(VALU_DEP_1) | instskip(NEXT) | instid1(VALU_DEP_1)
	v_lshlrev_b64 v[25:26], 4, v[25:26]
	v_add_co_u32 v25, vcc_lo, s4, v25
	s_delay_alu instid0(VALU_DEP_2)
	v_add_co_ci_u32_e32 v26, vcc_lo, s5, v26, vcc_lo
	global_load_b128 v[25:28], v[25:26], off
.LBB0_18:
	s_or_b32 exec_lo, exec_lo, s6
	v_dual_mov_b32 v35, 0 :: v_dual_add_nc_u32 v52, 16, v57
	v_mov_b32_e32 v36, 0
	s_delay_alu instid0(VALU_DEP_1)
	v_dual_mov_b32 v40, v36 :: v_dual_mov_b32 v39, v35
	v_dual_mov_b32 v38, v36 :: v_dual_mov_b32 v37, v35
	s_and_saveexec_b32 s6, s3
	s_cbranch_execz .LBB0_20
; %bb.19:
	v_mul_lo_u32 v33, s10, v52
	v_mov_b32_e32 v34, 0
	s_delay_alu instid0(VALU_DEP_2) | instskip(NEXT) | instid1(VALU_DEP_1)
	v_add3_u32 v33, v54, v51, v33
	v_lshlrev_b64 v[33:34], 4, v[33:34]
	s_delay_alu instid0(VALU_DEP_1) | instskip(NEXT) | instid1(VALU_DEP_2)
	v_add_co_u32 v33, vcc_lo, s4, v33
	v_add_co_ci_u32_e32 v34, vcc_lo, s5, v34, vcc_lo
	global_load_b128 v[37:40], v[33:34], off
.LBB0_20:
	s_or_b32 exec_lo, exec_lo, s6
	v_dual_mov_b32 v33, v35 :: v_dual_add_nc_u32 v60, 40, v57
	v_mov_b32_e32 v34, v36
	s_and_saveexec_b32 s6, s3
	s_cbranch_execz .LBB0_22
; %bb.21:
	s_delay_alu instid0(VALU_DEP_2) | instskip(SKIP_1) | instid1(VALU_DEP_2)
	v_mul_lo_u32 v33, s10, v60
	v_mov_b32_e32 v34, 0
	v_add3_u32 v33, v54, v51, v33
	s_delay_alu instid0(VALU_DEP_1) | instskip(NEXT) | instid1(VALU_DEP_1)
	v_lshlrev_b64 v[33:34], 4, v[33:34]
	v_add_co_u32 v33, vcc_lo, s4, v33
	s_delay_alu instid0(VALU_DEP_2)
	v_add_co_ci_u32_e32 v34, vcc_lo, s5, v34, vcc_lo
	global_load_b128 v[33:36], v[33:34], off
.LBB0_22:
	s_or_b32 exec_lo, exec_lo, s6
	s_clause 0x1
	s_load_b64 s[6:7], s[0:1], 0x20
	s_load_b64 s[12:13], s[0:1], 0x0
	v_mov_b32_e32 v43, 0
	v_mov_b32_e32 v44, 0
	s_delay_alu instid0(VALU_DEP_1)
	v_dual_mov_b32 v48, v44 :: v_dual_mov_b32 v47, v43
	v_dual_mov_b32 v46, v44 :: v_dual_mov_b32 v45, v43
	s_and_saveexec_b32 s9, s3
	s_cbranch_execz .LBB0_24
; %bb.23:
	v_or_b32_e32 v41, 64, v57
	v_mov_b32_e32 v42, 0
	s_delay_alu instid0(VALU_DEP_2) | instskip(NEXT) | instid1(VALU_DEP_1)
	v_mul_lo_u32 v41, s10, v41
	v_add3_u32 v41, v54, v51, v41
	s_delay_alu instid0(VALU_DEP_1) | instskip(NEXT) | instid1(VALU_DEP_1)
	v_lshlrev_b64 v[41:42], 4, v[41:42]
	v_add_co_u32 v41, vcc_lo, s4, v41
	s_delay_alu instid0(VALU_DEP_2)
	v_add_co_ci_u32_e32 v42, vcc_lo, s5, v42, vcc_lo
	global_load_b128 v[45:48], v[41:42], off
.LBB0_24:
	s_or_b32 exec_lo, exec_lo, s9
	v_dual_mov_b32 v41, v43 :: v_dual_mov_b32 v42, v44
	s_and_saveexec_b32 s9, s3
	s_cbranch_execz .LBB0_26
; %bb.25:
	v_dual_mov_b32 v42, 0 :: v_dual_add_nc_u32 v41, 0x58, v57
	s_delay_alu instid0(VALU_DEP_1) | instskip(NEXT) | instid1(VALU_DEP_1)
	v_mul_lo_u32 v41, s10, v41
	v_add3_u32 v41, v54, v51, v41
	s_delay_alu instid0(VALU_DEP_1) | instskip(NEXT) | instid1(VALU_DEP_1)
	v_lshlrev_b64 v[41:42], 4, v[41:42]
	v_add_co_u32 v41, vcc_lo, s4, v41
	s_delay_alu instid0(VALU_DEP_2)
	v_add_co_ci_u32_e32 v42, vcc_lo, s5, v42, vcc_lo
	global_load_b128 v[41:44], v[41:42], off
.LBB0_26:
	s_or_b32 exec_lo, exec_lo, s9
	s_waitcnt vmcnt(0)
	v_add_f64 v[45:46], v[37:38], -v[45:46]
	v_add_f64 v[41:42], v[33:34], -v[41:42]
	;; [unrolled: 1-line block ×12, first 2 shown]
	v_lshlrev_b32_e32 v51, 9, v50
	v_lshlrev_b32_e32 v54, 9, v52
	v_bfe_u32 v83, v0, 4, 2
	v_lshlrev_b32_e32 v55, 7, v58
	v_lshlrev_b32_e32 v56, 7, v59
	s_waitcnt lgkmcnt(0)
	s_clause 0x1
	s_load_b64 s[10:11], s[6:7], 0x0
	s_load_b128 s[4:7], s[6:7], 0x8
	v_lshlrev_b32_e32 v59, 1, v59
	v_lshlrev_b32_e32 v74, 4, v83
	v_bfe_u32 v93, v0, 4, 3
	s_mov_b32 s14, 0xe8584caa
	s_mov_b32 s15, 0x3febb67a
	;; [unrolled: 1-line block ×4, first 2 shown]
	v_fma_f64 v[37:38], v[37:38], 2.0, -v[45:46]
	v_fma_f64 v[33:34], v[33:34], 2.0, -v[41:42]
	;; [unrolled: 1-line block ×12, first 2 shown]
	v_add_f64 v[27:28], v[29:30], -v[27:28]
	v_add_f64 v[63:64], v[15:16], v[9:10]
	v_add_f64 v[25:26], v[31:32], v[25:26]
	v_add_f64 v[11:12], v[13:14], -v[11:12]
	v_add_f64 v[43:44], v[45:46], -v[43:44]
	v_add_f64 v[41:42], v[47:48], v[41:42]
	v_add_f64 v[33:34], v[37:38], -v[33:34]
	v_add_f64 v[65:66], v[7:8], -v[3:4]
	;; [unrolled: 1-line block ×4, first 2 shown]
	v_lshlrev_b32_e32 v1, 3, v53
	v_add_f64 v[17:18], v[21:22], -v[17:18]
	v_add_f64 v[35:36], v[39:40], -v[35:36]
	v_fma_f64 v[9:10], v[29:30], 2.0, -v[27:28]
	v_fma_f64 v[15:16], v[15:16], 2.0, -v[63:64]
	;; [unrolled: 1-line block ×6, first 2 shown]
	v_add3_u32 v72, 0, v51, v1
	v_add3_u32 v73, 0, v54, v1
	;; [unrolled: 1-line block ×4, first 2 shown]
	s_delay_alu instid0(VALU_DEP_4) | instskip(NEXT) | instid1(VALU_DEP_4)
	v_mad_i32_i24 v55, 0xfffffe80, v50, v72
	v_mad_i32_i24 v56, 0xfffffe80, v52, v73
	v_fma_f64 v[29:30], v[37:38], 2.0, -v[33:34]
	v_fma_f64 v[37:38], v[7:8], 2.0, -v[65:66]
	v_lshlrev_b32_e32 v7, 7, v60
	v_fma_f64 v[23:24], v[23:24], 2.0, -v[19:20]
	v_lshlrev_b32_e32 v60, 1, v60
	;; [unrolled: 2-line block ×3, first 2 shown]
	v_fma_f64 v[21:22], v[21:22], 2.0, -v[17:18]
	v_add3_u32 v85, 0, v7, v1
	v_fma_f64 v[39:40], v[39:40], 2.0, -v[35:36]
	s_delay_alu instid0(VALU_DEP_4)
	v_add3_u32 v71, 0, v6, v1
	ds_store_2addr_b64 v71, v[61:62], v[11:12] offset0:32 offset1:48
	ds_store_2addr_b64 v72, v[17:18], v[27:28] offset0:32 offset1:48
	;; [unrolled: 1-line block ×3, first 2 shown]
	ds_store_2addr_b64 v71, v[4:5], v[2:3] offset1:16
	ds_store_2addr_b64 v72, v[21:22], v[9:10] offset1:16
	;; [unrolled: 1-line block ×3, first 2 shown]
	v_mad_i32_i24 v51, 0xfffffe80, v57, v71
	s_waitcnt lgkmcnt(0)
	s_barrier
	buffer_gl0_inv
	ds_load_2addr_stride64_b64 v[2:5], v51 offset1:12
	ds_load_2addr_stride64_b64 v[6:9], v51 offset0:14 offset1:16
	ds_load_b64 v[33:34], v54
	ds_load_2addr_stride64_b64 v[10:13], v51 offset0:18 offset1:20
	ds_load_b64 v[43:44], v84
	ds_load_b64 v[47:48], v85
	;; [unrolled: 1-line block ×4, first 2 shown]
	ds_load_b64 v[69:70], v51 offset:11264
	s_waitcnt lgkmcnt(0)
	s_barrier
	buffer_gl0_inv
	ds_store_2addr_b64 v71, v[37:38], v[15:16] offset1:16
	ds_store_2addr_b64 v71, v[65:66], v[63:64] offset0:32 offset1:48
	ds_store_2addr_b64 v72, v[23:24], v[31:32] offset1:16
	ds_store_2addr_b64 v72, v[19:20], v[25:26] offset0:32 offset1:48
	;; [unrolled: 2-line block ×3, first 2 shown]
	s_waitcnt lgkmcnt(0)
	s_barrier
	buffer_gl0_inv
	global_load_b128 v[14:17], v74, s[12:13]
	ds_load_2addr_stride64_b64 v[18:21], v51 offset1:12
	ds_load_2addr_stride64_b64 v[22:25], v51 offset0:14 offset1:16
	ds_load_2addr_stride64_b64 v[26:29], v51 offset0:18 offset1:20
	ds_load_b64 v[30:31], v51 offset:11264
	ds_load_b64 v[35:36], v54
	ds_load_b64 v[37:38], v55
	s_waitcnt vmcnt(0) lgkmcnt(3)
	v_mul_f64 v[63:64], v[26:27], v[16:17]
	v_mul_f64 v[39:40], v[20:21], v[16:17]
	;; [unrolled: 1-line block ×10, first 2 shown]
	s_waitcnt lgkmcnt(2)
	v_mul_f64 v[71:72], v[30:31], v[16:17]
	v_mul_f64 v[16:17], v[69:70], v[16:17]
	v_fma_f64 v[10:11], v[10:11], v[14:15], -v[63:64]
	v_fma_f64 v[4:5], v[4:5], v[14:15], -v[39:40]
	v_fma_f64 v[20:21], v[20:21], v[14:15], v[73:74]
	v_fma_f64 v[6:7], v[6:7], v[14:15], -v[41:42]
	v_fma_f64 v[22:23], v[22:23], v[14:15], v[75:76]
	;; [unrolled: 2-line block ×3, first 2 shown]
	v_fma_f64 v[26:27], v[26:27], v[14:15], v[79:80]
	v_fma_f64 v[12:13], v[12:13], v[14:15], -v[65:66]
	v_fma_f64 v[28:29], v[28:29], v[14:15], v[81:82]
	v_fma_f64 v[39:40], v[69:70], v[14:15], -v[71:72]
	v_fma_f64 v[14:15], v[30:31], v[14:15], v[16:17]
	ds_load_b64 v[16:17], v56
	ds_load_b64 v[30:31], v84
	;; [unrolled: 1-line block ×3, first 2 shown]
	v_lshlrev_b32_e32 v63, 1, v57
	v_lshlrev_b32_e32 v64, 1, v50
	;; [unrolled: 1-line block ×4, first 2 shown]
	s_waitcnt lgkmcnt(0)
	v_and_or_b32 v63, 0x78, v63, v83
	v_and_or_b32 v64, 0xf8, v64, v83
	;; [unrolled: 1-line block ×3, first 2 shown]
	s_barrier
	buffer_gl0_inv
	v_lshlrev_b32_e32 v63, 7, v63
	v_lshlrev_b32_e32 v64, 7, v64
	;; [unrolled: 1-line block ×3, first 2 shown]
	s_delay_alu instid0(VALU_DEP_1)
	v_add3_u32 v65, 0, v65, v1
	v_add_f64 v[10:11], v[33:34], -v[10:11]
	v_add_f64 v[4:5], v[2:3], -v[4:5]
	;; [unrolled: 1-line block ×12, first 2 shown]
	v_fma_f64 v[32:33], v[33:34], 2.0, -v[10:11]
	v_lshlrev_b32_e32 v34, 1, v58
	v_fma_f64 v[2:3], v[2:3], 2.0, -v[4:5]
	v_fma_f64 v[18:19], v[18:19], 2.0, -v[20:21]
	;; [unrolled: 1-line block ×5, first 2 shown]
	v_and_or_b32 v67, 0xf8, v59, v83
	v_and_or_b32 v68, 0xf8, v60, v83
	v_fma_f64 v[59:60], v[16:17], 2.0, -v[24:25]
	v_and_or_b32 v66, 0xf8, v34, v83
	v_fma_f64 v[34:35], v[35:36], 2.0, -v[26:27]
	v_fma_f64 v[43:44], v[43:44], 2.0, -v[12:13]
	;; [unrolled: 1-line block ×5, first 2 shown]
	v_lshlrev_b32_e32 v16, 7, v66
	v_lshlrev_b32_e32 v17, 7, v67
	;; [unrolled: 1-line block ×3, first 2 shown]
	v_add3_u32 v66, 0, v63, v1
	v_add3_u32 v67, 0, v64, v1
	;; [unrolled: 1-line block ×5, first 2 shown]
	ds_store_2addr_stride64_b64 v66, v[2:3], v[4:5] offset1:1
	ds_store_2addr_stride64_b64 v67, v[14:15], v[6:7] offset1:1
	;; [unrolled: 1-line block ×6, first 2 shown]
	s_waitcnt lgkmcnt(0)
	s_barrier
	buffer_gl0_inv
	ds_load_2addr_stride64_b64 v[2:5], v51 offset1:10
	ds_load_2addr_stride64_b64 v[6:9], v51 offset0:16 offset1:18
	ds_load_b64 v[43:44], v55
	ds_load_b64 v[47:48], v56
	ds_load_2addr_stride64_b64 v[10:13], v51 offset0:12 offset1:14
	ds_load_2addr_stride64_b64 v[14:17], v51 offset0:20 offset1:22
	ds_load_b64 v[61:62], v84
	ds_load_b64 v[63:64], v54
	s_waitcnt lgkmcnt(0)
	s_barrier
	buffer_gl0_inv
	ds_store_2addr_stride64_b64 v66, v[18:19], v[20:21] offset1:1
	ds_store_2addr_stride64_b64 v67, v[37:38], v[22:23] offset1:1
	;; [unrolled: 1-line block ×6, first 2 shown]
	s_waitcnt lgkmcnt(0)
	s_barrier
	buffer_gl0_inv
	s_clause 0x1
	global_load_b128 v[18:21], v69, s[12:13] offset:80
	global_load_b128 v[22:25], v69, s[12:13] offset:64
	ds_load_2addr_stride64_b64 v[26:29], v51 offset0:16 offset1:18
	ds_load_b64 v[45:46], v84
	ds_load_2addr_stride64_b64 v[30:33], v51 offset1:10
	ds_load_2addr_stride64_b64 v[34:37], v51 offset0:12 offset1:14
	ds_load_2addr_stride64_b64 v[38:41], v51 offset0:20 offset1:22
	ds_load_b64 v[65:66], v54
	v_lshrrev_b32_e32 v58, 3, v58
	s_waitcnt vmcnt(1) lgkmcnt(5)
	v_mul_f64 v[59:60], v[26:27], v[20:21]
	s_waitcnt vmcnt(0) lgkmcnt(4)
	v_mul_f64 v[67:68], v[45:46], v[24:25]
	v_mul_f64 v[69:70], v[28:29], v[20:21]
	s_waitcnt lgkmcnt(3)
	v_mul_f64 v[71:72], v[32:33], v[24:25]
	s_waitcnt lgkmcnt(2)
	;; [unrolled: 2-line block ×3, first 2 shown]
	v_mul_f64 v[75:76], v[38:39], v[20:21]
	v_mul_f64 v[77:78], v[36:37], v[24:25]
	v_mul_f64 v[79:80], v[40:41], v[20:21]
	v_mul_f64 v[81:82], v[61:62], v[24:25]
	v_mul_f64 v[83:84], v[6:7], v[20:21]
	v_mul_f64 v[85:86], v[4:5], v[24:25]
	v_mul_f64 v[87:88], v[8:9], v[20:21]
	v_mul_f64 v[89:90], v[10:11], v[24:25]
	v_mul_f64 v[91:92], v[14:15], v[20:21]
	v_mul_f64 v[24:25], v[12:13], v[24:25]
	v_mul_f64 v[20:21], v[16:17], v[20:21]
	v_fma_f64 v[6:7], v[6:7], v[18:19], -v[59:60]
	v_fma_f64 v[59:60], v[61:62], v[22:23], -v[67:68]
	ds_load_b64 v[67:68], v55
	v_fma_f64 v[8:9], v[8:9], v[18:19], -v[69:70]
	v_fma_f64 v[4:5], v[4:5], v[22:23], -v[71:72]
	ds_load_b64 v[71:72], v56
	v_fma_f64 v[10:11], v[10:11], v[22:23], -v[73:74]
	v_fma_f64 v[14:15], v[14:15], v[18:19], -v[75:76]
	;; [unrolled: 1-line block ×4, first 2 shown]
	v_fma_f64 v[45:46], v[45:46], v[22:23], v[81:82]
	v_fma_f64 v[26:27], v[26:27], v[18:19], v[83:84]
	;; [unrolled: 1-line block ×8, first 2 shown]
	v_mul_u32_u24_e32 v90, 24, v58
	s_waitcnt lgkmcnt(0)
	s_barrier
	buffer_gl0_inv
	v_add_f64 v[20:21], v[59:60], v[6:7]
	v_add_f64 v[75:76], v[2:3], v[59:60]
	v_add_f64 v[58:59], v[59:60], -v[6:7]
	v_add_f64 v[24:25], v[4:5], v[8:9]
	v_add_f64 v[81:82], v[43:44], v[4:5]
	;; [unrolled: 1-line block ×6, first 2 shown]
	v_add_f64 v[4:5], v[4:5], -v[8:9]
	v_add_f64 v[61:62], v[45:46], v[26:27]
	v_add_f64 v[79:80], v[45:46], -v[26:27]
	v_add_f64 v[69:70], v[32:33], v[28:29]
	;; [unrolled: 2-line block ×4, first 2 shown]
	v_fma_f64 v[2:3], v[20:21], -0.5, v[2:3]
	v_add_f64 v[20:21], v[32:33], -v[28:29]
	v_add_f64 v[32:33], v[67:68], v[32:33]
	v_fma_f64 v[24:25], v[24:25], -0.5, v[43:44]
	v_add_f64 v[42:43], v[34:35], -v[38:39]
	v_lshrrev_b32_e32 v44, 7, v0
	v_fma_f64 v[36:37], v[36:37], -0.5, v[47:48]
	v_add_f64 v[47:48], v[22:23], -v[18:19]
	v_fma_f64 v[40:41], v[40:41], -0.5, v[63:64]
	v_lshrrev_b32_e32 v63, 3, v50
	v_mul_u32_u24_e32 v87, 24, v44
	v_add_f64 v[44:45], v[30:31], v[45:46]
	v_add_f64 v[22:23], v[65:66], v[22:23]
	v_fma_f64 v[30:31], v[61:62], -0.5, v[30:31]
	v_lshrrev_b32_e32 v64, 3, v52
	v_add_f64 v[34:35], v[71:72], v[34:35]
	v_fma_f64 v[60:61], v[69:70], -0.5, v[67:68]
	v_mul_u32_u24_e32 v88, 24, v63
	v_fma_f64 v[62:63], v[73:74], -0.5, v[71:72]
	v_mul_u32_u24_e32 v89, 24, v64
	v_fma_f64 v[64:65], v[77:78], -0.5, v[65:66]
	v_add_f64 v[6:7], v[75:76], v[6:7]
	v_add_f64 v[8:9], v[81:82], v[8:9]
	;; [unrolled: 1-line block ×4, first 2 shown]
	v_or_b32_e32 v46, v87, v93
	v_or_b32_e32 v70, v90, v93
	s_delay_alu instid0(VALU_DEP_2) | instskip(NEXT) | instid1(VALU_DEP_2)
	v_lshlrev_b32_e32 v46, 7, v46
	v_lshlrev_b32_e32 v70, 7, v70
	s_delay_alu instid0(VALU_DEP_2) | instskip(NEXT) | instid1(VALU_DEP_2)
	v_add3_u32 v71, 0, v46, v1
	v_add3_u32 v70, 0, v70, v1
	v_fma_f64 v[66:67], v[79:80], s[14:15], v[2:3]
	v_fma_f64 v[2:3], v[79:80], s[16:17], v[2:3]
	v_add_f64 v[28:29], v[32:33], v[28:29]
	v_fma_f64 v[68:69], v[20:21], s[14:15], v[24:25]
	v_fma_f64 v[20:21], v[20:21], s[16:17], v[24:25]
	;; [unrolled: 1-line block ×6, first 2 shown]
	v_or_b32_e32 v47, v88, v93
	v_add_f64 v[26:27], v[44:45], v[26:27]
	v_add_f64 v[18:19], v[22:23], v[18:19]
	v_fma_f64 v[22:23], v[58:59], s[16:17], v[30:31]
	v_or_b32_e32 v48, v89, v93
	v_fma_f64 v[30:31], v[58:59], s[14:15], v[30:31]
	v_add_f64 v[32:33], v[34:35], v[38:39]
	v_fma_f64 v[34:35], v[4:5], s[16:17], v[60:61]
	v_fma_f64 v[38:39], v[4:5], s[14:15], v[60:61]
	v_lshlrev_b32_e32 v47, 7, v47
	v_fma_f64 v[58:59], v[10:11], s[16:17], v[62:63]
	v_fma_f64 v[60:61], v[10:11], s[14:15], v[62:63]
	v_lshlrev_b32_e32 v48, 7, v48
	v_fma_f64 v[62:63], v[12:13], s[16:17], v[64:65]
	v_fma_f64 v[64:65], v[12:13], s[14:15], v[64:65]
	v_add3_u32 v72, 0, v47, v1
	s_delay_alu instid0(VALU_DEP_4)
	v_add3_u32 v73, 0, v48, v1
	ds_store_2addr_stride64_b64 v71, v[6:7], v[66:67] offset1:2
	ds_store_b64 v71, v[2:3] offset:2048
	ds_store_2addr_stride64_b64 v72, v[8:9], v[68:69] offset1:2
	ds_store_b64 v72, v[20:21] offset:2048
	;; [unrolled: 2-line block ×4, first 2 shown]
	s_waitcnt lgkmcnt(0)
	s_barrier
	buffer_gl0_inv
	ds_load_2addr_stride64_b64 v[1:4], v51 offset1:8
	ds_load_2addr_stride64_b64 v[9:12], v51 offset0:10 offset1:12
	ds_load_2addr_stride64_b64 v[5:8], v51 offset0:18 offset1:20
	;; [unrolled: 1-line block ×3, first 2 shown]
	ds_load_b64 v[45:46], v54
	ds_load_b64 v[41:42], v56
	;; [unrolled: 1-line block ×3, first 2 shown]
	ds_load_b64 v[47:48], v51 offset:11264
	s_waitcnt lgkmcnt(0)
	s_barrier
	buffer_gl0_inv
	ds_store_2addr_stride64_b64 v71, v[26:27], v[22:23] offset1:2
	ds_store_b64 v71, v[30:31] offset:2048
	ds_store_2addr_stride64_b64 v72, v[28:29], v[34:35] offset1:2
	ds_store_b64 v72, v[38:39] offset:2048
	;; [unrolled: 2-line block ×4, first 2 shown]
	s_waitcnt lgkmcnt(0)
	s_barrier
	buffer_gl0_inv
	s_and_saveexec_b32 s5, s3
	s_cbranch_execz .LBB0_28
; %bb.27:
	v_and_b32_e32 v17, 0xff, v52
	v_and_b32_e32 v18, 0xff, v50
	s_load_b64 s[14:15], s[0:1], 0x8
	s_movk_i32 s3, 0xff0
	v_and_b32_e32 v0, 0xffff, v0
	v_mul_lo_u16 v17, 0xab, v17
	s_load_b64 s[0:1], s[0:1], 0x60
	s_mul_i32 s2, s6, s2
	s_delay_alu instid0(VALU_DEP_1) | instskip(SKIP_1) | instid1(VALU_DEP_2)
	v_lshrrev_b16 v58, 12, v17
	v_mul_lo_u16 v17, 0xab, v18
	v_mul_lo_u16 v18, v58, 24
	s_delay_alu instid0(VALU_DEP_2) | instskip(NEXT) | instid1(VALU_DEP_2)
	v_lshrrev_b16 v59, 12, v17
	v_sub_nc_u16 v17, v52, v18
	s_delay_alu instid0(VALU_DEP_2) | instskip(NEXT) | instid1(VALU_DEP_2)
	v_mul_lo_u16 v18, v59, 24
	v_and_b32_e32 v62, 0xff, v17
	s_delay_alu instid0(VALU_DEP_2) | instskip(NEXT) | instid1(VALU_DEP_2)
	v_sub_nc_u16 v17, v50, v18
	v_mul_u32_u24_e32 v18, 3, v62
	s_delay_alu instid0(VALU_DEP_2) | instskip(SKIP_1) | instid1(VALU_DEP_3)
	v_and_b32_e32 v60, 0xff, v17
	v_mul_lo_u32 v66, v49, v62
	v_lshlrev_b32_e32 v61, 4, v18
	s_delay_alu instid0(VALU_DEP_3) | instskip(SKIP_1) | instid1(VALU_DEP_4)
	v_mul_u32_u24_e32 v21, 3, v60
	v_mul_lo_u32 v65, v49, v60
	v_and_b32_e32 v67, 0xff, v66
	s_clause 0x1
	global_load_b128 v[17:20], v61, s[12:13] offset:336
	global_load_b128 v[29:32], v61, s[12:13] offset:320
	v_lshlrev_b32_e32 v63, 4, v21
	v_and_b32_e32 v21, 0xff, v57
	v_lshrrev_b32_e32 v68, 4, v66
	v_lshlrev_b32_e32 v66, 4, v67
	v_and_b32_e32 v76, 0xff, v65
	global_load_b128 v[37:40], v63, s[12:13] offset:336
	v_mul_lo_u16 v21, 0xab, v21
	v_and_or_b32 v67, v68, s3, 0x1000
	v_lshrrev_b32_e32 v65, 4, v65
	s_delay_alu instid0(VALU_DEP_3) | instskip(NEXT) | instid1(VALU_DEP_2)
	v_lshrrev_b16 v21, 12, v21
	v_and_or_b32 v65, v65, s3, 0x1000
	s_delay_alu instid0(VALU_DEP_2) | instskip(NEXT) | instid1(VALU_DEP_1)
	v_mul_lo_u16 v21, v21, 24
	v_sub_nc_u16 v21, v57, v21
	s_delay_alu instid0(VALU_DEP_1) | instskip(NEXT) | instid1(VALU_DEP_1)
	v_and_b32_e32 v57, 0xff, v21
	v_mul_u32_u24_e32 v21, 3, v57
	s_delay_alu instid0(VALU_DEP_1)
	v_lshlrev_b32_e32 v64, 4, v21
	s_clause 0x2
	global_load_b128 v[33:36], v64, s[12:13] offset:336
	global_load_b128 v[21:24], v63, s[12:13] offset:352
	global_load_b128 v[25:28], v64, s[12:13] offset:352
	s_waitcnt lgkmcnt(0)
	s_clause 0x1
	global_load_b128 v[68:71], v66, s[14:15]
	global_load_b128 v[72:75], v67, s[14:15]
	v_lshlrev_b32_e32 v66, 4, v76
	s_clause 0x1
	global_load_b128 v[76:79], v66, s[14:15]
	global_load_b128 v[80:83], v65, s[14:15]
	v_mul_lo_u32 v65, v49, v57
	s_delay_alu instid0(VALU_DEP_1) | instskip(SKIP_1) | instid1(VALU_DEP_2)
	v_and_b32_e32 v66, 0xff, v65
	v_lshrrev_b32_e32 v65, 4, v65
	v_lshlrev_b32_e32 v66, 4, v66
	s_delay_alu instid0(VALU_DEP_2)
	v_and_or_b32 v65, v65, s3, 0x1000
	s_clause 0x1
	global_load_b128 v[84:87], v66, s[14:15]
	global_load_b128 v[88:91], v65, s[14:15]
	ds_load_2addr_stride64_b64 v[92:95], v51 offset0:14 offset1:16
	ds_load_2addr_stride64_b64 v[96:99], v51 offset0:10 offset1:12
	global_load_b128 v[100:103], v63, s[12:13] offset:320
	s_waitcnt vmcnt(12)
	v_mul_f64 v[65:66], v[15:16], v[19:20]
	s_waitcnt lgkmcnt(1)
	v_mul_f64 v[19:20], v[94:95], v[19:20]
	s_waitcnt vmcnt(11) lgkmcnt(0)
	v_mul_f64 v[106:107], v[96:97], v[31:32]
	v_mul_f64 v[31:32], v[9:10], v[31:32]
	s_waitcnt vmcnt(10)
	v_mul_f64 v[104:105], v[13:14], v[39:40]
	v_mul_f64 v[39:40], v[92:93], v[39:40]
	v_fma_f64 v[108:109], v[94:95], v[17:18], v[65:66]
	v_fma_f64 v[110:111], v[15:16], v[17:18], -v[19:20]
	global_load_b128 v[15:18], v64, s[12:13] offset:320
	v_add_nc_u32_e32 v63, 0x48, v62
	s_waitcnt vmcnt(10)
	v_mul_f64 v[19:20], v[11:12], v[35:36]
	v_fma_f64 v[106:107], v[9:10], v[29:30], -v[106:107]
	v_add_nc_u32_e32 v9, 48, v62
	v_fma_f64 v[104:105], v[92:93], v[37:38], v[104:105]
	v_mul_lo_u32 v63, v49, v63
	v_fma_f64 v[112:113], v[13:14], v[37:38], -v[39:40]
	v_mul_f64 v[13:14], v[98:99], v[35:36]
	v_mul_lo_u32 v9, v49, v9
	v_fma_f64 v[96:97], v[96:97], v[29:30], v[31:32]
	v_and_b32_e32 v67, 0xff, v63
	v_lshrrev_b32_e32 v63, 4, v63
	s_delay_alu instid0(VALU_DEP_4) | instskip(SKIP_1) | instid1(VALU_DEP_4)
	v_and_b32_e32 v10, 0xff, v9
	v_lshrrev_b32_e32 v9, 4, v9
	v_lshlrev_b32_e32 v64, 4, v67
	s_delay_alu instid0(VALU_DEP_4)
	v_and_or_b32 v63, v63, s3, 0x1000
	s_clause 0x1
	global_load_b128 v[37:40], v64, s[14:15]
	global_load_b128 v[63:66], v63, s[14:15]
	ds_load_2addr_stride64_b64 v[92:95], v51 offset0:18 offset1:20
	v_lshlrev_b32_e32 v10, 4, v10
	v_and_or_b32 v29, v9, s3, 0x1000
	v_fma_f64 v[98:99], v[98:99], v[33:34], v[19:20]
	s_waitcnt vmcnt(11)
	v_mul_f64 v[19:20], v[7:8], v[23:24]
	s_waitcnt lgkmcnt(0)
	v_mul_f64 v[35:36], v[94:95], v[23:24]
	s_waitcnt vmcnt(10)
	v_mul_f64 v[23:24], v[92:93], v[27:28]
	v_fma_f64 v[114:115], v[11:12], v[33:34], -v[13:14]
	s_clause 0x1
	global_load_b128 v[9:12], v10, s[14:15]
	global_load_b128 v[29:32], v29, s[14:15]
	v_add_nc_u32_e32 v13, 24, v62
	v_add_nc_u32_e32 v62, 48, v60
	s_delay_alu instid0(VALU_DEP_2) | instskip(NEXT) | instid1(VALU_DEP_2)
	v_mul_lo_u32 v13, v49, v13
	v_mul_lo_u32 v62, v49, v62
	s_delay_alu instid0(VALU_DEP_2) | instskip(SKIP_1) | instid1(VALU_DEP_2)
	v_and_b32_e32 v14, 0xff, v13
	v_lshrrev_b32_e32 v13, 4, v13
	v_lshlrev_b32_e32 v33, 4, v14
	s_delay_alu instid0(VALU_DEP_2)
	v_and_or_b32 v34, v13, s3, 0x1000
	v_mul_f64 v[13:14], v[5:6], v[27:28]
	v_fma_f64 v[94:95], v[94:95], v[21:22], v[19:20]
	v_fma_f64 v[116:117], v[7:8], v[21:22], -v[35:36]
	v_fma_f64 v[27:28], v[5:6], v[25:26], -v[23:24]
	s_clause 0x1
	global_load_b128 v[5:8], v33, s[14:15]
	global_load_b128 v[19:22], v34, s[14:15]
	s_waitcnt vmcnt(12)
	v_mul_f64 v[23:24], v[68:69], v[74:75]
	s_waitcnt vmcnt(10)
	v_mul_f64 v[33:34], v[76:77], v[82:83]
	v_add_nc_u32_e32 v35, 0x48, v60
	s_delay_alu instid0(VALU_DEP_1) | instskip(SKIP_4) | instid1(VALU_DEP_3)
	v_mul_lo_u32 v35, v49, v35
	v_fma_f64 v[92:93], v[92:93], v[25:26], v[13:14]
	v_mul_f64 v[13:14], v[70:71], v[74:75]
	v_mul_f64 v[25:26], v[78:79], v[82:83]
	v_fma_f64 v[118:119], v[70:71], v[72:73], v[23:24]
	v_fma_f64 v[82:83], v[68:69], v[72:73], -v[13:14]
	v_and_b32_e32 v13, 0xff, v35
	v_lshrrev_b32_e32 v14, 4, v35
	s_waitcnt vmcnt(8)
	v_mul_f64 v[67:68], v[84:85], v[90:91]
	v_fma_f64 v[75:76], v[76:77], v[80:81], -v[25:26]
	v_fma_f64 v[77:78], v[78:79], v[80:81], v[33:34]
	v_lshlrev_b32_e32 v23, 4, v13
	v_and_or_b32 v35, v14, s3, 0x1000
	v_mul_f64 v[13:14], v[86:87], v[90:91]
	s_clause 0x1
	global_load_b128 v[23:26], v23, s[14:15]
	global_load_b128 v[33:36], v35, s[14:15]
	v_and_b32_e32 v69, 0xff, v62
	v_lshrrev_b32_e32 v62, 4, v62
	s_delay_alu instid0(VALU_DEP_2) | instskip(NEXT) | instid1(VALU_DEP_2)
	v_lshlrev_b32_e32 v69, 4, v69
	v_and_or_b32 v62, v62, s3, 0x1000
	v_fma_f64 v[79:80], v[84:85], v[88:89], -v[13:14]
	v_fma_f64 v[84:85], v[88:89], v[86:87], v[67:68]
	s_clause 0x1
	global_load_b128 v[67:70], v69, s[14:15]
	global_load_b128 v[71:74], v62, s[14:15]
	s_waitcnt vmcnt(8)
	v_mul_f64 v[13:14], v[39:40], v[65:66]
	v_mul_f64 v[65:66], v[37:38], v[65:66]
	s_delay_alu instid0(VALU_DEP_2) | instskip(SKIP_3) | instid1(VALU_DEP_4)
	v_fma_f64 v[86:87], v[37:38], v[63:64], -v[13:14]
	s_waitcnt vmcnt(6)
	v_mul_f64 v[13:14], v[11:12], v[31:32]
	v_mul_f64 v[31:32], v[9:10], v[31:32]
	v_fma_f64 v[62:63], v[39:40], v[63:64], v[65:66]
	global_load_b128 v[37:40], v61, s[12:13] offset:352
	s_waitcnt vmcnt(5)
	v_mul_f64 v[64:65], v[7:8], v[21:22]
	v_fma_f64 v[88:89], v[9:10], v[29:30], -v[13:14]
	v_mul_f64 v[9:10], v[5:6], v[21:22]
	v_fma_f64 v[29:30], v[11:12], v[29:30], v[31:32]
	v_add_nc_u32_e32 v11, 24, v60
	s_delay_alu instid0(VALU_DEP_1) | instskip(NEXT) | instid1(VALU_DEP_1)
	v_mul_lo_u32 v11, v49, v11
	v_and_b32_e32 v12, 0xff, v11
	v_lshrrev_b32_e32 v11, 4, v11
	s_delay_alu instid0(VALU_DEP_2) | instskip(NEXT) | instid1(VALU_DEP_2)
	v_lshlrev_b32_e32 v12, 4, v12
	v_and_or_b32 v11, v11, s3, 0x1000
	v_fma_f64 v[60:61], v[5:6], v[19:20], -v[64:65]
	v_fma_f64 v[31:32], v[7:8], v[19:20], v[9:10]
	s_clause 0x1
	global_load_b128 v[5:8], v12, s[14:15]
	global_load_b128 v[9:12], v11, s[14:15]
	s_waitcnt vmcnt(5)
	v_mul_f64 v[13:14], v[25:26], v[35:36]
	v_mul_f64 v[19:20], v[23:24], v[35:36]
	s_waitcnt vmcnt(3)
	v_mul_f64 v[21:22], v[69:70], v[73:74]
	s_delay_alu instid0(VALU_DEP_3) | instskip(NEXT) | instid1(VALU_DEP_3)
	v_fma_f64 v[35:36], v[23:24], v[33:34], -v[13:14]
	v_fma_f64 v[33:34], v[25:26], v[33:34], v[19:20]
	v_add_nc_u32_e32 v19, 0x48, v57
	v_mul_f64 v[13:14], v[67:68], v[73:74]
	v_mul_lo_u32 v74, s4, v53
	s_delay_alu instid0(VALU_DEP_3) | instskip(NEXT) | instid1(VALU_DEP_1)
	v_mul_lo_u32 v19, v49, v19
	v_and_b32_e32 v20, 0xff, v19
	v_lshrrev_b32_e32 v19, 4, v19
	s_delay_alu instid0(VALU_DEP_2) | instskip(NEXT) | instid1(VALU_DEP_2)
	v_lshlrev_b32_e32 v20, 4, v20
	v_and_or_b32 v23, v19, s3, 0x1000
	v_fma_f64 v[64:65], v[67:68], v[71:72], -v[21:22]
	s_clause 0x1
	global_load_b128 v[19:22], v20, s[14:15]
	global_load_b128 v[23:26], v23, s[14:15]
	v_fma_f64 v[66:67], v[69:70], v[71:72], v[13:14]
	ds_load_b64 v[13:14], v51 offset:11264
	ds_load_b64 v[68:69], v55
	ds_load_b64 v[55:56], v56
	s_waitcnt vmcnt(4) lgkmcnt(2)
	v_mul_f64 v[70:71], v[13:14], v[39:40]
	v_mul_f64 v[39:40], v[47:48], v[39:40]
	s_delay_alu instid0(VALU_DEP_2) | instskip(NEXT) | instid1(VALU_DEP_2)
	v_fma_f64 v[70:71], v[47:48], v[37:38], -v[70:71]
	v_fma_f64 v[37:38], v[13:14], v[37:38], v[39:40]
	v_add_nc_u32_e32 v39, 48, v57
	s_delay_alu instid0(VALU_DEP_1) | instskip(NEXT) | instid1(VALU_DEP_1)
	v_mul_lo_u32 v39, v49, v39
	v_and_b32_e32 v40, 0xff, v39
	v_lshrrev_b32_e32 v39, 4, v39
	s_delay_alu instid0(VALU_DEP_2) | instskip(NEXT) | instid1(VALU_DEP_2)
	v_lshlrev_b32_e32 v72, 4, v40
	v_and_or_b32 v73, v39, s3, 0x1000
	s_waitcnt vmcnt(2)
	v_mul_f64 v[13:14], v[7:8], v[11:12]
	v_mul_f64 v[11:12], v[5:6], v[11:12]
	v_add_f64 v[70:71], v[106:107], -v[70:71]
	v_add_f64 v[37:38], v[96:97], -v[37:38]
	s_delay_alu instid0(VALU_DEP_4) | instskip(NEXT) | instid1(VALU_DEP_4)
	v_fma_f64 v[39:40], v[5:6], v[9:10], -v[13:14]
	v_fma_f64 v[47:48], v[7:8], v[9:10], v[11:12]
	s_clause 0x1
	global_load_b128 v[5:8], v72, s[14:15]
	global_load_b128 v[9:12], v73, s[14:15]
	ds_load_b64 v[13:14], v54
	s_waitcnt lgkmcnt(0)
	v_mul_f64 v[72:73], v[13:14], v[17:18]
	v_mul_f64 v[17:18], v[45:46], v[17:18]
	s_delay_alu instid0(VALU_DEP_2) | instskip(NEXT) | instid1(VALU_DEP_2)
	v_fma_f64 v[72:73], v[45:46], v[15:16], -v[72:73]
	v_fma_f64 v[45:46], v[13:14], v[15:16], v[17:18]
	s_waitcnt vmcnt(2)
	v_mul_f64 v[13:14], v[21:22], v[25:26]
	v_mul_f64 v[15:16], v[19:20], v[25:26]
	v_add_nc_u32_e32 v17, 24, v57
	s_delay_alu instid0(VALU_DEP_1) | instskip(SKIP_1) | instid1(VALU_DEP_2)
	v_mul_lo_u32 v17, v49, v17
	v_mul_u32_u24_e32 v49, 0xaaab, v0
	v_and_b32_e32 v18, 0xff, v17
	v_lshrrev_b32_e32 v17, 4, v17
	s_delay_alu instid0(VALU_DEP_2) | instskip(NEXT) | instid1(VALU_DEP_2)
	v_lshlrev_b32_e32 v18, 4, v18
	v_and_or_b32 v17, v17, s3, 0x1000
	s_mul_i32 s3, s4, s8
	s_delay_alu instid0(SALU_CYCLE_1)
	s_add_i32 s2, s2, s3
	v_add_f64 v[27:28], v[72:73], -v[27:28]
	v_add_f64 v[92:93], v[45:46], -v[92:93]
	v_fma_f64 v[25:26], v[19:20], v[23:24], -v[13:14]
	v_fma_f64 v[21:22], v[21:22], v[23:24], v[15:16]
	s_clause 0x1
	global_load_b128 v[13:16], v18, s[14:15]
	global_load_b128 v[17:20], v17, s[14:15]
	v_fma_f64 v[45:46], v[45:46], 2.0, -v[92:93]
	s_waitcnt vmcnt(2)
	v_mul_f64 v[23:24], v[7:8], v[11:12]
	v_mul_f64 v[11:12], v[5:6], v[11:12]
	s_delay_alu instid0(VALU_DEP_2) | instskip(NEXT) | instid1(VALU_DEP_2)
	v_fma_f64 v[90:91], v[5:6], v[9:10], -v[23:24]
	v_fma_f64 v[9:10], v[7:8], v[9:10], v[11:12]
	ds_load_2addr_stride64_b64 v[5:8], v51 offset1:8
	v_mul_f64 v[11:12], v[3:4], v[102:103]
	v_and_b32_e32 v51, 0xffff, v58
	s_delay_alu instid0(VALU_DEP_1) | instskip(NEXT) | instid1(VALU_DEP_1)
	v_mad_u32_u24 v81, 0x48, v51, v52
	v_add_nc_u32_e32 v124, 24, v81
	v_add_nc_u32_e32 v125, 48, v81
	s_waitcnt lgkmcnt(0)
	v_mul_f64 v[23:24], v[7:8], v[102:103]
	v_add_f64 v[98:99], v[5:6], -v[98:99]
	v_add_f64 v[102:103], v[1:2], -v[114:115]
	v_fma_f64 v[7:8], v[7:8], v[100:101], v[11:12]
	v_add_f64 v[11:12], v[68:69], -v[104:105]
	v_add_f64 v[104:105], v[55:56], -v[108:109]
	;; [unrolled: 1-line block ×3, first 2 shown]
	v_fma_f64 v[3:4], v[3:4], v[100:101], -v[23:24]
	v_add_f64 v[23:24], v[43:44], -v[112:113]
	v_fma_f64 v[5:6], v[5:6], 2.0, -v[98:99]
	s_waitcnt vmcnt(0)
	v_mul_f64 v[110:111], v[13:14], v[19:20]
	v_add_f64 v[120:121], v[102:103], -v[92:93]
	v_fma_f64 v[92:93], v[96:97], 2.0, -v[37:38]
	v_mul_f64 v[19:20], v[15:16], v[19:20]
	v_add_f64 v[94:95], v[7:8], -v[94:95]
	v_fma_f64 v[68:69], v[68:69], 2.0, -v[11:12]
	v_fma_f64 v[54:55], v[55:56], 2.0, -v[104:105]
	;; [unrolled: 1-line block ×3, first 2 shown]
	v_add_f64 v[100:101], v[3:4], -v[116:117]
	v_fma_f64 v[116:117], v[1:2], 2.0, -v[102:103]
	v_fma_f64 v[0:1], v[72:73], 2.0, -v[27:28]
	v_add_f64 v[27:28], v[98:99], v[27:28]
	v_fma_f64 v[43:44], v[43:44], 2.0, -v[23:24]
	v_fma_f64 v[72:73], v[106:107], 2.0, -v[70:71]
	v_add_f64 v[45:46], v[5:6], -v[45:46]
	v_fma_f64 v[15:16], v[15:16], v[17:18], v[110:111]
	v_fma_f64 v[17:18], v[13:14], v[17:18], -v[19:20]
	v_add_f64 v[112:113], v[23:24], -v[94:95]
	v_fma_f64 v[7:8], v[7:8], 2.0, -v[94:95]
	v_add_f64 v[92:93], v[54:55], -v[92:93]
	v_add_f64 v[114:115], v[11:12], v[100:101]
	v_fma_f64 v[2:3], v[3:4], 2.0, -v[100:101]
	v_lshrrev_b32_e32 v4, 24, v49
	v_and_b32_e32 v49, 0xffff, v59
	v_add_f64 v[58:59], v[116:117], -v[0:1]
	v_fma_f64 v[94:95], v[98:99], 2.0, -v[27:28]
	v_add_f64 v[72:73], v[41:42], -v[72:73]
	v_mul_lo_u16 v4, 0x60, v4
	v_mad_u32_u24 v49, 0x48, v49, v50
	v_mov_b32_e32 v50, 0
	v_mul_f64 v[13:14], v[27:28], v[21:22]
	s_delay_alu instid0(VALU_DEP_4) | instskip(NEXT) | instid1(VALU_DEP_4)
	v_and_b32_e32 v4, 0xffff, v4
	v_mul_lo_u32 v122, s10, v49
	v_add_nc_u32_e32 v53, 24, v49
	v_add_nc_u32_e32 v100, 48, v49
	;; [unrolled: 1-line block ×3, first 2 shown]
	v_or_b32_e32 v4, v4, v57
	v_add_f64 v[56:57], v[108:109], -v[37:38]
	v_mul_f64 v[51:52], v[112:113], v[33:34]
	v_fma_f64 v[23:24], v[23:24], 2.0, -v[112:113]
	v_add_f64 v[37:38], v[104:105], v[70:71]
	v_add_f64 v[98:99], v[68:69], -v[7:8]
	v_fma_f64 v[70:71], v[102:103], 2.0, -v[120:121]
	v_mul_lo_u32 v0, s10, v4
	v_add_nc_u32_e32 v1, 24, v4
	v_mul_f64 v[7:8], v[120:121], v[21:22]
	v_mul_lo_u32 v127, s10, v100
	v_fma_f64 v[102:103], v[5:6], 2.0, -v[45:46]
	v_mul_lo_u32 v126, s10, v53
	v_add3_u32 v49, v74, v0, s2
	v_mul_f64 v[33:34], v[114:115], v[33:34]
	v_fma_f64 v[11:12], v[11:12], 2.0, -v[114:115]
	v_add_f64 v[96:97], v[43:44], -v[2:3]
	v_add_nc_u32_e32 v2, 48, v4
	v_mul_lo_u32 v3, s10, v1
	v_lshlrev_b64 v[0:1], 4, v[49:50]
	v_mul_f64 v[106:107], v[94:95], v[15:16]
	v_add_nc_u32_e32 v4, 0x48, v4
	v_mul_lo_u32 v2, s10, v2
	s_delay_alu instid0(VALU_DEP_4) | instskip(SKIP_3) | instid1(VALU_DEP_3)
	v_add_co_u32 v100, vcc_lo, s0, v0
	v_add3_u32 v49, v74, v3, s2
	v_add_co_ci_u32_e32 v101, vcc_lo, s1, v1, vcc_lo
	v_mul_lo_u32 v53, s10, v4
	v_lshlrev_b64 v[19:20], 4, v[49:50]
	v_add3_u32 v49, v74, v2, s2
	v_fma_f64 v[2:3], v[114:115], v[35:36], v[51:52]
	v_mul_f64 v[21:22], v[23:24], v[47:48]
	v_fma_f64 v[51:52], v[104:105], 2.0, -v[37:38]
	v_fma_f64 v[68:69], v[68:69], 2.0, -v[98:99]
	v_mul_f64 v[104:105], v[70:71], v[15:16]
	v_lshlrev_b64 v[4:5], 4, v[49:50]
	v_add3_u32 v49, v74, v53, s2
	v_add_co_u32 v53, vcc_lo, s0, v19
	v_fma_f64 v[6:7], v[27:28], v[25:26], v[7:8]
	v_mul_f64 v[114:115], v[58:59], v[9:10]
	s_delay_alu instid0(VALU_DEP_4) | instskip(SKIP_1) | instid1(VALU_DEP_1)
	v_lshlrev_b64 v[15:16], 4, v[49:50]
	v_add3_u32 v49, v74, v122, s2
	v_lshlrev_b64 v[27:28], 4, v[49:50]
	v_fma_f64 v[0:1], v[112:113], v[35:36], -v[33:34]
	v_mul_f64 v[33:34], v[11:12], v[47:48]
	v_fma_f64 v[47:48], v[108:109], 2.0, -v[56:57]
	v_fma_f64 v[35:36], v[116:117], 2.0, -v[58:59]
	;; [unrolled: 1-line block ×5, first 2 shown]
	v_add_co_ci_u32_e32 v54, vcc_lo, s1, v20, vcc_lo
	v_add_co_u32 v110, vcc_lo, s0, v4
	v_add_co_ci_u32_e32 v111, vcc_lo, s1, v5, vcc_lo
	v_fma_f64 v[4:5], v[120:121], v[25:26], -v[13:14]
	v_mul_f64 v[19:20], v[96:97], v[66:67]
	v_mul_f64 v[25:26], v[98:99], v[66:67]
	;; [unrolled: 1-line block ×3, first 2 shown]
	v_add_co_u32 v66, vcc_lo, s0, v15
	v_mul_f64 v[112:113], v[56:57], v[62:63]
	v_mul_f64 v[62:63], v[37:38], v[62:63]
	v_fma_f64 v[10:11], v[11:12], v[39:40], v[21:22]
	v_mul_f64 v[120:121], v[51:52], v[31:32]
	v_fma_f64 v[12:13], v[70:71], v[17:18], -v[106:107]
	v_fma_f64 v[14:15], v[94:95], v[17:18], v[104:105]
	v_mul_f64 v[94:95], v[92:93], v[29:30]
	v_add3_u32 v49, v74, v126, s2
	v_add_co_ci_u32_e32 v67, vcc_lo, s1, v16, vcc_lo
	v_add_nc_u32_e32 v16, 0x48, v81
	v_mul_lo_u32 v55, s10, v124
	s_delay_alu instid0(VALU_DEP_4) | instskip(SKIP_1) | instid1(VALU_DEP_4)
	v_lshlrev_b64 v[21:22], 4, v[49:50]
	v_add3_u32 v49, v74, v127, s2
	v_mul_lo_u32 v124, s10, v16
	v_fma_f64 v[8:9], v[23:24], v[39:40], -v[33:34]
	v_mul_f64 v[39:40], v[47:48], v[31:32]
	v_mul_f64 v[31:32], v[35:36], v[84:85]
	;; [unrolled: 1-line block ×8, first 2 shown]
	v_add_co_u32 v118, vcc_lo, s0, v27
	v_mul_lo_u32 v27, s10, v123
	v_lshlrev_b64 v[23:24], 4, v[49:50]
	v_add_co_ci_u32_e32 v119, vcc_lo, s1, v28, vcc_lo
	v_mul_lo_u32 v28, s10, v81
	v_fma_f64 v[18:19], v[98:99], v[64:65], v[19:20]
	v_fma_f64 v[16:17], v[96:97], v[64:65], -v[25:26]
	v_add_co_u32 v64, vcc_lo, s0, v21
	v_add3_u32 v49, v74, v27, s2
	v_add_co_ci_u32_e32 v65, vcc_lo, s1, v22, vcc_lo
	v_add_co_u32 v98, vcc_lo, s0, v23
	v_add_co_ci_u32_e32 v99, vcc_lo, s1, v24, vcc_lo
	s_delay_alu instid0(VALU_DEP_4)
	v_lshlrev_b64 v[96:97], 4, v[49:50]
	v_add3_u32 v49, v74, v28, s2
	v_fma_f64 v[28:29], v[58:59], v[90:91], -v[116:117]
	v_fma_f64 v[22:23], v[37:38], v[86:87], v[112:113]
	v_fma_f64 v[20:21], v[56:57], v[86:87], -v[62:63]
	v_mul_lo_u32 v81, s10, v125
	v_lshlrev_b64 v[122:123], 4, v[49:50]
	v_add3_u32 v49, v74, v55, s2
	v_fma_f64 v[38:39], v[51:52], v[60:61], v[39:40]
	v_fma_f64 v[26:27], v[102:103], v[79:80], v[31:32]
	v_fma_f64 v[24:25], v[35:36], v[79:80], -v[33:34]
	v_fma_f64 v[30:31], v[45:46], v[90:91], v[114:115]
	v_fma_f64 v[34:35], v[68:69], v[75:76], v[70:71]
	v_fma_f64 v[32:33], v[43:44], v[75:76], -v[77:78]
	v_fma_f64 v[42:43], v[41:42], v[82:83], v[104:105]
	v_fma_f64 v[40:41], v[108:109], v[82:83], -v[106:107]
	v_fma_f64 v[36:37], v[47:48], v[60:61], -v[120:121]
	v_fma_f64 v[46:47], v[92:93], v[88:89], v[84:85]
	v_fma_f64 v[44:45], v[72:73], v[88:89], -v[94:95]
	v_lshlrev_b64 v[55:56], 4, v[49:50]
	v_add3_u32 v49, v74, v81, s2
	v_add_co_u32 v51, vcc_lo, s0, v96
	v_add_co_ci_u32_e32 v52, vcc_lo, s1, v97, vcc_lo
	s_delay_alu instid0(VALU_DEP_3) | instskip(SKIP_4) | instid1(VALU_DEP_4)
	v_lshlrev_b64 v[59:60], 4, v[49:50]
	v_add3_u32 v49, v74, v124, s2
	v_add_co_u32 v57, vcc_lo, s0, v122
	v_add_co_ci_u32_e32 v58, vcc_lo, s1, v123, vcc_lo
	v_add_co_u32 v55, vcc_lo, s0, v55
	v_lshlrev_b64 v[48:49], 4, v[49:50]
	v_add_co_ci_u32_e32 v56, vcc_lo, s1, v56, vcc_lo
	v_add_co_u32 v59, vcc_lo, s0, v59
	v_add_co_ci_u32_e32 v60, vcc_lo, s1, v60, vcc_lo
	s_delay_alu instid0(VALU_DEP_4)
	v_add_co_u32 v48, vcc_lo, s0, v48
	v_add_co_ci_u32_e32 v49, vcc_lo, s1, v49, vcc_lo
	s_clause 0xb
	global_store_b128 v[100:101], v[24:27], off
	global_store_b128 v[53:54], v[12:15], off
	;; [unrolled: 1-line block ×12, first 2 shown]
.LBB0_28:
	s_nop 0
	s_sendmsg sendmsg(MSG_DEALLOC_VGPRS)
	s_endpgm
	.section	.rodata,"a",@progbits
	.p2align	6, 0x0
	.amdhsa_kernel fft_rtc_fwd_len96_factors_4_2_3_4_wgs_128_tpt_8_halfLds_dim2_dp_op_CI_CI_sbcc_twdbase8_2step_dirReg_intrinsicReadWrite
		.amdhsa_group_segment_fixed_size 0
		.amdhsa_private_segment_fixed_size 0
		.amdhsa_kernarg_size 104
		.amdhsa_user_sgpr_count 15
		.amdhsa_user_sgpr_dispatch_ptr 0
		.amdhsa_user_sgpr_queue_ptr 0
		.amdhsa_user_sgpr_kernarg_segment_ptr 1
		.amdhsa_user_sgpr_dispatch_id 0
		.amdhsa_user_sgpr_private_segment_size 0
		.amdhsa_wavefront_size32 1
		.amdhsa_uses_dynamic_stack 0
		.amdhsa_enable_private_segment 0
		.amdhsa_system_sgpr_workgroup_id_x 1
		.amdhsa_system_sgpr_workgroup_id_y 0
		.amdhsa_system_sgpr_workgroup_id_z 0
		.amdhsa_system_sgpr_workgroup_info 0
		.amdhsa_system_vgpr_workitem_id 0
		.amdhsa_next_free_vgpr 128
		.amdhsa_next_free_sgpr 20
		.amdhsa_reserve_vcc 1
		.amdhsa_float_round_mode_32 0
		.amdhsa_float_round_mode_16_64 0
		.amdhsa_float_denorm_mode_32 3
		.amdhsa_float_denorm_mode_16_64 3
		.amdhsa_dx10_clamp 1
		.amdhsa_ieee_mode 1
		.amdhsa_fp16_overflow 0
		.amdhsa_workgroup_processor_mode 1
		.amdhsa_memory_ordered 1
		.amdhsa_forward_progress 0
		.amdhsa_shared_vgpr_count 0
		.amdhsa_exception_fp_ieee_invalid_op 0
		.amdhsa_exception_fp_denorm_src 0
		.amdhsa_exception_fp_ieee_div_zero 0
		.amdhsa_exception_fp_ieee_overflow 0
		.amdhsa_exception_fp_ieee_underflow 0
		.amdhsa_exception_fp_ieee_inexact 0
		.amdhsa_exception_int_div_zero 0
	.end_amdhsa_kernel
	.text
.Lfunc_end0:
	.size	fft_rtc_fwd_len96_factors_4_2_3_4_wgs_128_tpt_8_halfLds_dim2_dp_op_CI_CI_sbcc_twdbase8_2step_dirReg_intrinsicReadWrite, .Lfunc_end0-fft_rtc_fwd_len96_factors_4_2_3_4_wgs_128_tpt_8_halfLds_dim2_dp_op_CI_CI_sbcc_twdbase8_2step_dirReg_intrinsicReadWrite
                                        ; -- End function
	.section	.AMDGPU.csdata,"",@progbits
; Kernel info:
; codeLenInByte = 7788
; NumSgprs: 22
; NumVgprs: 128
; ScratchSize: 0
; MemoryBound: 0
; FloatMode: 240
; IeeeMode: 1
; LDSByteSize: 0 bytes/workgroup (compile time only)
; SGPRBlocks: 2
; VGPRBlocks: 15
; NumSGPRsForWavesPerEU: 22
; NumVGPRsForWavesPerEU: 128
; Occupancy: 10
; WaveLimiterHint : 1
; COMPUTE_PGM_RSRC2:SCRATCH_EN: 0
; COMPUTE_PGM_RSRC2:USER_SGPR: 15
; COMPUTE_PGM_RSRC2:TRAP_HANDLER: 0
; COMPUTE_PGM_RSRC2:TGID_X_EN: 1
; COMPUTE_PGM_RSRC2:TGID_Y_EN: 0
; COMPUTE_PGM_RSRC2:TGID_Z_EN: 0
; COMPUTE_PGM_RSRC2:TIDIG_COMP_CNT: 0
	.text
	.p2alignl 7, 3214868480
	.fill 96, 4, 3214868480
	.type	__hip_cuid_80df053a39919509,@object ; @__hip_cuid_80df053a39919509
	.section	.bss,"aw",@nobits
	.globl	__hip_cuid_80df053a39919509
__hip_cuid_80df053a39919509:
	.byte	0                               ; 0x0
	.size	__hip_cuid_80df053a39919509, 1

	.ident	"AMD clang version 19.0.0git (https://github.com/RadeonOpenCompute/llvm-project roc-6.4.0 25133 c7fe45cf4b819c5991fe208aaa96edf142730f1d)"
	.section	".note.GNU-stack","",@progbits
	.addrsig
	.addrsig_sym __hip_cuid_80df053a39919509
	.amdgpu_metadata
---
amdhsa.kernels:
  - .args:
      - .actual_access:  read_only
        .address_space:  global
        .offset:         0
        .size:           8
        .value_kind:     global_buffer
      - .address_space:  global
        .offset:         8
        .size:           8
        .value_kind:     global_buffer
      - .actual_access:  read_only
        .address_space:  global
        .offset:         16
        .size:           8
        .value_kind:     global_buffer
      - .actual_access:  read_only
        .address_space:  global
        .offset:         24
        .size:           8
        .value_kind:     global_buffer
      - .actual_access:  read_only
        .address_space:  global
        .offset:         32
        .size:           8
        .value_kind:     global_buffer
      - .offset:         40
        .size:           8
        .value_kind:     by_value
      - .actual_access:  read_only
        .address_space:  global
        .offset:         48
        .size:           8
        .value_kind:     global_buffer
      - .actual_access:  read_only
        .address_space:  global
        .offset:         56
        .size:           8
        .value_kind:     global_buffer
      - .offset:         64
        .size:           4
        .value_kind:     by_value
      - .actual_access:  read_only
        .address_space:  global
        .offset:         72
        .size:           8
        .value_kind:     global_buffer
      - .actual_access:  read_only
        .address_space:  global
        .offset:         80
        .size:           8
        .value_kind:     global_buffer
      - .actual_access:  read_only
        .address_space:  global
        .offset:         88
        .size:           8
        .value_kind:     global_buffer
      - .actual_access:  write_only
        .address_space:  global
        .offset:         96
        .size:           8
        .value_kind:     global_buffer
    .group_segment_fixed_size: 0
    .kernarg_segment_align: 8
    .kernarg_segment_size: 104
    .language:       OpenCL C
    .language_version:
      - 2
      - 0
    .max_flat_workgroup_size: 128
    .name:           fft_rtc_fwd_len96_factors_4_2_3_4_wgs_128_tpt_8_halfLds_dim2_dp_op_CI_CI_sbcc_twdbase8_2step_dirReg_intrinsicReadWrite
    .private_segment_fixed_size: 0
    .sgpr_count:     22
    .sgpr_spill_count: 0
    .symbol:         fft_rtc_fwd_len96_factors_4_2_3_4_wgs_128_tpt_8_halfLds_dim2_dp_op_CI_CI_sbcc_twdbase8_2step_dirReg_intrinsicReadWrite.kd
    .uniform_work_group_size: 1
    .uses_dynamic_stack: false
    .vgpr_count:     128
    .vgpr_spill_count: 0
    .wavefront_size: 32
    .workgroup_processor_mode: 1
amdhsa.target:   amdgcn-amd-amdhsa--gfx1100
amdhsa.version:
  - 1
  - 2
...

	.end_amdgpu_metadata
